;; amdgpu-corpus repo=ROCm/rocFFT kind=compiled arch=gfx906 opt=O3
	.text
	.amdgcn_target "amdgcn-amd-amdhsa--gfx906"
	.amdhsa_code_object_version 6
	.protected	fft_rtc_back_len1496_factors_17_8_11_wgs_187_tpt_187_halfLds_half_op_CI_CI_sbrr_dirReg ; -- Begin function fft_rtc_back_len1496_factors_17_8_11_wgs_187_tpt_187_halfLds_half_op_CI_CI_sbrr_dirReg
	.globl	fft_rtc_back_len1496_factors_17_8_11_wgs_187_tpt_187_halfLds_half_op_CI_CI_sbrr_dirReg
	.p2align	8
	.type	fft_rtc_back_len1496_factors_17_8_11_wgs_187_tpt_187_halfLds_half_op_CI_CI_sbrr_dirReg,@function
fft_rtc_back_len1496_factors_17_8_11_wgs_187_tpt_187_halfLds_half_op_CI_CI_sbrr_dirReg: ; @fft_rtc_back_len1496_factors_17_8_11_wgs_187_tpt_187_halfLds_half_op_CI_CI_sbrr_dirReg
; %bb.0:
	s_load_dwordx4 s[16:19], s[4:5], 0x18
	s_load_dwordx4 s[12:15], s[4:5], 0x0
	;; [unrolled: 1-line block ×3, first 2 shown]
	v_mul_u32_u24_e32 v1, 0x15f, v0
	v_add_u32_sdwa v10, s6, v1 dst_sel:DWORD dst_unused:UNUSED_PAD src0_sel:DWORD src1_sel:WORD_1
	s_waitcnt lgkmcnt(0)
	s_load_dwordx2 s[22:23], s[16:17], 0x0
	s_load_dwordx2 s[20:21], s[18:19], 0x0
	v_cmp_lt_u64_e64 s[0:1], s[14:15], 2
	v_mov_b32_e32 v3, 0
	v_mov_b32_e32 v1, 0
	;; [unrolled: 1-line block ×3, first 2 shown]
	s_and_b64 vcc, exec, s[0:1]
	v_mov_b32_e32 v2, 0
	s_cbranch_vccnz .LBB0_8
; %bb.1:
	s_load_dwordx2 s[0:1], s[4:5], 0x10
	s_add_u32 s2, s18, 8
	s_addc_u32 s3, s19, 0
	s_add_u32 s6, s16, 8
	v_mov_b32_e32 v1, 0
	s_addc_u32 s7, s17, 0
	v_mov_b32_e32 v2, 0
	s_waitcnt lgkmcnt(0)
	s_add_u32 s24, s0, 8
	v_mov_b32_e32 v7, v2
	s_addc_u32 s25, s1, 0
	s_mov_b64 s[26:27], 1
	v_mov_b32_e32 v6, v1
.LBB0_2:                                ; =>This Inner Loop Header: Depth=1
	s_load_dwordx2 s[28:29], s[24:25], 0x0
                                        ; implicit-def: $vgpr8_vgpr9
	s_waitcnt lgkmcnt(0)
	v_or_b32_e32 v4, s29, v11
	v_cmp_ne_u64_e32 vcc, 0, v[3:4]
	s_and_saveexec_b64 s[0:1], vcc
	s_xor_b64 s[30:31], exec, s[0:1]
	s_cbranch_execz .LBB0_4
; %bb.3:                                ;   in Loop: Header=BB0_2 Depth=1
	v_cvt_f32_u32_e32 v4, s28
	v_cvt_f32_u32_e32 v5, s29
	s_sub_u32 s0, 0, s28
	s_subb_u32 s1, 0, s29
	v_mac_f32_e32 v4, 0x4f800000, v5
	v_rcp_f32_e32 v4, v4
	v_mul_f32_e32 v4, 0x5f7ffffc, v4
	v_mul_f32_e32 v5, 0x2f800000, v4
	v_trunc_f32_e32 v5, v5
	v_mac_f32_e32 v4, 0xcf800000, v5
	v_cvt_u32_f32_e32 v5, v5
	v_cvt_u32_f32_e32 v4, v4
	v_mul_lo_u32 v8, s0, v5
	v_mul_hi_u32 v9, s0, v4
	v_mul_lo_u32 v13, s1, v4
	v_mul_lo_u32 v12, s0, v4
	v_add_u32_e32 v8, v9, v8
	v_add_u32_e32 v8, v8, v13
	v_mul_hi_u32 v9, v4, v12
	v_mul_lo_u32 v13, v4, v8
	v_mul_hi_u32 v15, v4, v8
	v_mul_hi_u32 v14, v5, v12
	v_mul_lo_u32 v12, v5, v12
	v_mul_hi_u32 v16, v5, v8
	v_add_co_u32_e32 v9, vcc, v9, v13
	v_addc_co_u32_e32 v13, vcc, 0, v15, vcc
	v_mul_lo_u32 v8, v5, v8
	v_add_co_u32_e32 v9, vcc, v9, v12
	v_addc_co_u32_e32 v9, vcc, v13, v14, vcc
	v_addc_co_u32_e32 v12, vcc, 0, v16, vcc
	v_add_co_u32_e32 v8, vcc, v9, v8
	v_addc_co_u32_e32 v9, vcc, 0, v12, vcc
	v_add_co_u32_e32 v4, vcc, v4, v8
	v_addc_co_u32_e32 v5, vcc, v5, v9, vcc
	v_mul_lo_u32 v8, s0, v5
	v_mul_hi_u32 v9, s0, v4
	v_mul_lo_u32 v12, s1, v4
	v_mul_lo_u32 v13, s0, v4
	v_add_u32_e32 v8, v9, v8
	v_add_u32_e32 v8, v8, v12
	v_mul_lo_u32 v14, v4, v8
	v_mul_hi_u32 v15, v4, v13
	v_mul_hi_u32 v16, v4, v8
	;; [unrolled: 1-line block ×3, first 2 shown]
	v_mul_lo_u32 v13, v5, v13
	v_mul_hi_u32 v9, v5, v8
	v_add_co_u32_e32 v14, vcc, v15, v14
	v_addc_co_u32_e32 v15, vcc, 0, v16, vcc
	v_mul_lo_u32 v8, v5, v8
	v_add_co_u32_e32 v13, vcc, v14, v13
	v_addc_co_u32_e32 v12, vcc, v15, v12, vcc
	v_addc_co_u32_e32 v9, vcc, 0, v9, vcc
	v_add_co_u32_e32 v8, vcc, v12, v8
	v_addc_co_u32_e32 v9, vcc, 0, v9, vcc
	v_add_co_u32_e32 v8, vcc, v4, v8
	v_addc_co_u32_e32 v9, vcc, v5, v9, vcc
	v_mad_u64_u32 v[4:5], s[0:1], v10, v9, 0
	v_mul_hi_u32 v12, v10, v8
	v_add_co_u32_e32 v12, vcc, v12, v4
	v_addc_co_u32_e32 v13, vcc, 0, v5, vcc
	v_mad_u64_u32 v[4:5], s[0:1], v11, v8, 0
	v_mad_u64_u32 v[8:9], s[0:1], v11, v9, 0
	v_add_co_u32_e32 v4, vcc, v12, v4
	v_addc_co_u32_e32 v4, vcc, v13, v5, vcc
	v_addc_co_u32_e32 v5, vcc, 0, v9, vcc
	v_add_co_u32_e32 v8, vcc, v4, v8
	v_addc_co_u32_e32 v9, vcc, 0, v5, vcc
	v_mul_lo_u32 v12, s29, v8
	v_mul_lo_u32 v13, s28, v9
	v_mad_u64_u32 v[4:5], s[0:1], s28, v8, 0
	v_add3_u32 v5, v5, v13, v12
	v_sub_u32_e32 v12, v11, v5
	v_mov_b32_e32 v13, s29
	v_sub_co_u32_e32 v4, vcc, v10, v4
	v_subb_co_u32_e64 v12, s[0:1], v12, v13, vcc
	v_subrev_co_u32_e64 v13, s[0:1], s28, v4
	v_subbrev_co_u32_e64 v12, s[0:1], 0, v12, s[0:1]
	v_cmp_le_u32_e64 s[0:1], s29, v12
	v_cndmask_b32_e64 v14, 0, -1, s[0:1]
	v_cmp_le_u32_e64 s[0:1], s28, v13
	v_cndmask_b32_e64 v13, 0, -1, s[0:1]
	v_cmp_eq_u32_e64 s[0:1], s29, v12
	v_cndmask_b32_e64 v12, v14, v13, s[0:1]
	v_add_co_u32_e64 v13, s[0:1], 2, v8
	v_addc_co_u32_e64 v14, s[0:1], 0, v9, s[0:1]
	v_add_co_u32_e64 v15, s[0:1], 1, v8
	v_addc_co_u32_e64 v16, s[0:1], 0, v9, s[0:1]
	v_subb_co_u32_e32 v5, vcc, v11, v5, vcc
	v_cmp_ne_u32_e64 s[0:1], 0, v12
	v_cmp_le_u32_e32 vcc, s29, v5
	v_cndmask_b32_e64 v12, v16, v14, s[0:1]
	v_cndmask_b32_e64 v14, 0, -1, vcc
	v_cmp_le_u32_e32 vcc, s28, v4
	v_cndmask_b32_e64 v4, 0, -1, vcc
	v_cmp_eq_u32_e32 vcc, s29, v5
	v_cndmask_b32_e32 v4, v14, v4, vcc
	v_cmp_ne_u32_e32 vcc, 0, v4
	v_cndmask_b32_e64 v4, v15, v13, s[0:1]
	v_cndmask_b32_e32 v9, v9, v12, vcc
	v_cndmask_b32_e32 v8, v8, v4, vcc
.LBB0_4:                                ;   in Loop: Header=BB0_2 Depth=1
	s_andn2_saveexec_b64 s[0:1], s[30:31]
	s_cbranch_execz .LBB0_6
; %bb.5:                                ;   in Loop: Header=BB0_2 Depth=1
	v_cvt_f32_u32_e32 v4, s28
	s_sub_i32 s30, 0, s28
	v_rcp_iflag_f32_e32 v4, v4
	v_mul_f32_e32 v4, 0x4f7ffffe, v4
	v_cvt_u32_f32_e32 v4, v4
	v_mul_lo_u32 v5, s30, v4
	v_mul_hi_u32 v5, v4, v5
	v_add_u32_e32 v4, v4, v5
	v_mul_hi_u32 v4, v10, v4
	v_mul_lo_u32 v5, v4, s28
	v_add_u32_e32 v8, 1, v4
	v_sub_u32_e32 v5, v10, v5
	v_subrev_u32_e32 v9, s28, v5
	v_cmp_le_u32_e32 vcc, s28, v5
	v_cndmask_b32_e32 v5, v5, v9, vcc
	v_cndmask_b32_e32 v4, v4, v8, vcc
	v_add_u32_e32 v8, 1, v4
	v_cmp_le_u32_e32 vcc, s28, v5
	v_cndmask_b32_e32 v8, v4, v8, vcc
	v_mov_b32_e32 v9, v3
.LBB0_6:                                ;   in Loop: Header=BB0_2 Depth=1
	s_or_b64 exec, exec, s[0:1]
	v_mul_lo_u32 v12, v9, s28
	v_mul_lo_u32 v13, v8, s29
	v_mad_u64_u32 v[4:5], s[0:1], v8, s28, 0
	s_load_dwordx2 s[0:1], s[6:7], 0x0
	s_load_dwordx2 s[28:29], s[2:3], 0x0
	v_add3_u32 v5, v5, v13, v12
	v_sub_co_u32_e32 v4, vcc, v10, v4
	v_subb_co_u32_e32 v5, vcc, v11, v5, vcc
	s_waitcnt lgkmcnt(0)
	v_mul_lo_u32 v10, s0, v5
	v_mul_lo_u32 v11, s1, v4
	v_mad_u64_u32 v[1:2], s[0:1], s0, v4, v[1:2]
	v_mul_lo_u32 v5, s28, v5
	v_mul_lo_u32 v12, s29, v4
	v_mad_u64_u32 v[6:7], s[0:1], s28, v4, v[6:7]
	s_add_u32 s26, s26, 1
	s_addc_u32 s27, s27, 0
	s_add_u32 s2, s2, 8
	v_add3_u32 v7, v12, v7, v5
	s_addc_u32 s3, s3, 0
	v_mov_b32_e32 v4, s14
	s_add_u32 s6, s6, 8
	v_mov_b32_e32 v5, s15
	s_addc_u32 s7, s7, 0
	v_cmp_ge_u64_e32 vcc, s[26:27], v[4:5]
	s_add_u32 s24, s24, 8
	v_add3_u32 v2, v11, v2, v10
	s_addc_u32 s25, s25, 0
	s_cbranch_vccnz .LBB0_9
; %bb.7:                                ;   in Loop: Header=BB0_2 Depth=1
	v_mov_b32_e32 v11, v9
	v_mov_b32_e32 v10, v8
	s_branch .LBB0_2
.LBB0_8:
	v_mov_b32_e32 v7, v2
	v_mov_b32_e32 v8, v10
	;; [unrolled: 1-line block ×4, first 2 shown]
.LBB0_9:
	s_load_dwordx2 s[0:1], s[4:5], 0x28
	s_mov_b32 s4, 0x15e75bc
	v_mul_hi_u32 v3, v0, s4
	s_lshl_b64 s[2:3], s[14:15], 3
	s_add_u32 s4, s18, s2
	s_waitcnt lgkmcnt(0)
	v_cmp_gt_u64_e32 vcc, s[0:1], v[8:9]
	v_mul_u32_u24_e32 v3, 0xbb, v3
	v_sub_u32_e32 v10, v0, v3
	s_movk_i32 s0, 0x58
	v_cmp_gt_u32_e64 s[0:1], s0, v10
	s_addc_u32 s5, s19, s3
	s_and_b64 s[14:15], vcc, s[0:1]
	v_mov_b32_e32 v17, 0
	v_mov_b32_e32 v3, 0
                                        ; implicit-def: $vgpr18
                                        ; implicit-def: $vgpr4
                                        ; implicit-def: $vgpr19
                                        ; implicit-def: $vgpr5
                                        ; implicit-def: $vgpr20
                                        ; implicit-def: $vgpr12
                                        ; implicit-def: $vgpr21
                                        ; implicit-def: $vgpr13
                                        ; implicit-def: $vgpr22
                                        ; implicit-def: $vgpr14
                                        ; implicit-def: $vgpr23
                                        ; implicit-def: $vgpr15
                                        ; implicit-def: $vgpr24
                                        ; implicit-def: $vgpr16
                                        ; implicit-def: $vgpr25
                                        ; implicit-def: $vgpr34
                                        ; implicit-def: $vgpr26
                                        ; implicit-def: $vgpr42
                                        ; implicit-def: $vgpr27
                                        ; implicit-def: $vgpr41
                                        ; implicit-def: $vgpr28
                                        ; implicit-def: $vgpr40
                                        ; implicit-def: $vgpr29
                                        ; implicit-def: $vgpr39
                                        ; implicit-def: $vgpr30
                                        ; implicit-def: $vgpr38
                                        ; implicit-def: $vgpr31
                                        ; implicit-def: $vgpr37
                                        ; implicit-def: $vgpr32
                                        ; implicit-def: $vgpr36
                                        ; implicit-def: $vgpr33
                                        ; implicit-def: $vgpr35
	s_and_saveexec_b64 s[6:7], s[14:15]
	s_cbranch_execz .LBB0_11
; %bb.10:
	s_add_u32 s2, s16, s2
	s_addc_u32 s3, s17, s3
	s_load_dwordx2 s[2:3], s[2:3], 0x0
	v_mad_u64_u32 v[3:4], s[14:15], s22, v10, 0
	v_mov_b32_e32 v0, v4
	s_waitcnt lgkmcnt(0)
	v_mul_lo_u32 v13, s3, v8
	v_mul_lo_u32 v14, s2, v9
	v_mad_u64_u32 v[11:12], s[2:3], s2, v8, 0
	v_mad_u64_u32 v[4:5], s[2:3], s23, v10, v[0:1]
	v_add3_u32 v12, v12, v14, v13
	v_lshlrev_b64 v[11:12], 2, v[11:12]
	v_mov_b32_e32 v0, s9
	v_add_co_u32_e64 v5, s[2:3], s8, v11
	v_add_u32_e32 v14, 0x58, v10
	v_addc_co_u32_e64 v13, s[2:3], v0, v12, s[2:3]
	v_mad_u64_u32 v[11:12], s[2:3], s22, v14, 0
	v_lshlrev_b64 v[0:1], 2, v[1:2]
	v_add_co_u32_e64 v42, s[2:3], v5, v0
	v_mov_b32_e32 v2, v12
	v_addc_co_u32_e64 v43, s[2:3], v13, v1, s[2:3]
	v_lshlrev_b64 v[0:1], 2, v[3:4]
	v_mad_u64_u32 v[2:3], s[2:3], s23, v14, v[2:3]
	v_add_u32_e32 v5, 0xb0, v10
	v_mad_u64_u32 v[3:4], s[2:3], s22, v5, 0
	v_add_co_u32_e64 v0, s[2:3], v42, v0
	v_mov_b32_e32 v12, v2
	v_mov_b32_e32 v2, v4
	v_addc_co_u32_e64 v1, s[2:3], v43, v1, s[2:3]
	v_mad_u64_u32 v[4:5], s[2:3], s23, v5, v[2:3]
	v_add_u32_e32 v5, 0x108, v10
	v_mad_u64_u32 v[13:14], s[2:3], s22, v5, 0
	v_lshlrev_b64 v[11:12], 2, v[11:12]
	v_lshlrev_b64 v[2:3], 2, v[3:4]
	v_add_co_u32_e64 v17, s[2:3], v42, v11
	v_mov_b32_e32 v4, v14
	v_addc_co_u32_e64 v18, s[2:3], v43, v12, s[2:3]
	v_mad_u64_u32 v[4:5], s[2:3], s23, v5, v[4:5]
	v_add_u32_e32 v5, 0x160, v10
	v_mad_u64_u32 v[11:12], s[2:3], s22, v5, 0
	v_add_co_u32_e64 v19, s[2:3], v42, v2
	v_mov_b32_e32 v14, v4
	v_mov_b32_e32 v4, v12
	v_addc_co_u32_e64 v20, s[2:3], v43, v3, s[2:3]
	v_mad_u64_u32 v[4:5], s[2:3], s23, v5, v[4:5]
	v_add_u32_e32 v5, 0x1b8, v10
	v_lshlrev_b64 v[2:3], 2, v[13:14]
	v_mad_u64_u32 v[13:14], s[2:3], s22, v5, 0
	v_add_co_u32_e64 v21, s[2:3], v42, v2
	v_mov_b32_e32 v12, v4
	v_mov_b32_e32 v4, v14
	v_addc_co_u32_e64 v22, s[2:3], v43, v3, s[2:3]
	v_mad_u64_u32 v[4:5], s[2:3], s23, v5, v[4:5]
	v_add_u32_e32 v5, 0x210, v10
	v_lshlrev_b64 v[2:3], 2, v[11:12]
	;; [unrolled: 8-line block ×3, first 2 shown]
	v_mad_u64_u32 v[13:14], s[2:3], s22, v5, 0
	v_add_co_u32_e64 v25, s[2:3], v42, v2
	v_mov_b32_e32 v12, v4
	v_mov_b32_e32 v4, v14
	v_addc_co_u32_e64 v26, s[2:3], v43, v3, s[2:3]
	v_mad_u64_u32 v[4:5], s[2:3], s23, v5, v[4:5]
	v_lshlrev_b64 v[2:3], 2, v[11:12]
	v_add_u32_e32 v11, 0x318, v10
	v_add_co_u32_e64 v27, s[2:3], v42, v2
	v_mov_b32_e32 v14, v4
	v_add_u32_e32 v4, 0x2c0, v10
	v_addc_co_u32_e64 v28, s[2:3], v43, v3, s[2:3]
	v_mad_u64_u32 v[29:30], s[2:3], s22, v4, 0
	v_lshlrev_b64 v[2:3], 2, v[13:14]
	v_add_co_u32_e64 v31, s[2:3], v42, v2
	v_mov_b32_e32 v2, v30
	v_addc_co_u32_e64 v32, s[2:3], v43, v3, s[2:3]
	v_mad_u64_u32 v[2:3], s[2:3], s23, v4, v[2:3]
	global_load_dword v3, v[0:1], off
	global_load_dword v4, v[17:18], off
	;; [unrolled: 1-line block ×8, first 2 shown]
	v_mad_u64_u32 v[33:34], s[2:3], s22, v11, 0
	v_mov_b32_e32 v30, v2
	v_lshlrev_b64 v[0:1], 2, v[29:30]
	v_mov_b32_e32 v2, v34
	s_waitcnt vmcnt(7)
	v_mad_u64_u32 v[17:18], s[2:3], s23, v11, v[2:3]
	v_add_u32_e32 v11, 0x370, v10
	v_mad_u64_u32 v[18:19], s[2:3], s22, v11, 0
	v_add_co_u32_e64 v0, s[2:3], v42, v0
	v_mov_b32_e32 v2, v19
	v_addc_co_u32_e64 v1, s[2:3], v43, v1, s[2:3]
	v_mad_u64_u32 v[22:23], s[2:3], s23, v11, v[2:3]
	v_add_u32_e32 v11, 0x3c8, v10
	v_mad_u64_u32 v[23:24], s[2:3], s22, v11, 0
	v_mov_b32_e32 v34, v17
	v_lshlrev_b64 v[20:21], 2, v[33:34]
	v_mov_b32_e32 v2, v24
	v_add_co_u32_e64 v20, s[2:3], v42, v20
	v_addc_co_u32_e64 v21, s[2:3], v43, v21, s[2:3]
	v_mad_u64_u32 v[24:25], s[2:3], s23, v11, v[2:3]
	v_add_u32_e32 v11, 0x420, v10
	v_mad_u64_u32 v[25:26], s[2:3], s22, v11, 0
	v_mov_b32_e32 v19, v22
	v_lshlrev_b64 v[17:18], 2, v[18:19]
	v_mov_b32_e32 v2, v26
	v_add_co_u32_e64 v17, s[2:3], v42, v17
	v_addc_co_u32_e64 v18, s[2:3], v43, v18, s[2:3]
	v_mad_u64_u32 v[26:27], s[2:3], s23, v11, v[2:3]
	v_add_u32_e32 v11, 0x478, v10
	v_mad_u64_u32 v[27:28], s[2:3], s22, v11, 0
	v_lshlrev_b64 v[22:23], 2, v[23:24]
	v_lshlrev_b64 v[24:25], 2, v[25:26]
	v_add_co_u32_e64 v22, s[2:3], v42, v22
	v_mov_b32_e32 v2, v28
	v_addc_co_u32_e64 v23, s[2:3], v43, v23, s[2:3]
	v_mad_u64_u32 v[28:29], s[2:3], s23, v11, v[2:3]
	v_add_u32_e32 v11, 0x4d0, v10
	v_mad_u64_u32 v[29:30], s[2:3], s22, v11, 0
	v_add_co_u32_e64 v24, s[2:3], v42, v24
	v_mov_b32_e32 v2, v30
	v_addc_co_u32_e64 v25, s[2:3], v43, v25, s[2:3]
	v_mad_u64_u32 v[30:31], s[2:3], s23, v11, v[2:3]
	v_add_u32_e32 v11, 0x528, v10
	v_mad_u64_u32 v[31:32], s[2:3], s22, v11, 0
	v_lshlrev_b64 v[26:27], 2, v[27:28]
	v_lshlrev_b64 v[28:29], 2, v[29:30]
	v_add_co_u32_e64 v26, s[2:3], v42, v26
	v_mov_b32_e32 v2, v32
	v_addc_co_u32_e64 v27, s[2:3], v43, v27, s[2:3]
	v_mad_u64_u32 v[32:33], s[2:3], s23, v11, v[2:3]
	v_add_co_u32_e64 v28, s[2:3], v42, v28
	v_or_b32_e32 v11, 0x580, v10
	v_addc_co_u32_e64 v29, s[2:3], v43, v29, s[2:3]
	v_lshlrev_b64 v[30:31], 2, v[31:32]
	v_mad_u64_u32 v[32:33], s[2:3], s22, v11, 0
	v_add_co_u32_e64 v30, s[2:3], v42, v30
	v_mov_b32_e32 v2, v33
	v_addc_co_u32_e64 v31, s[2:3], v43, v31, s[2:3]
	v_mad_u64_u32 v[33:34], s[2:3], s23, v11, v[2:3]
	global_load_dword v34, v[0:1], off
	global_load_dword v35, v[20:21], off
	;; [unrolled: 1-line block ×8, first 2 shown]
	v_lshrrev_b32_e32 v17, 16, v3
	v_lshlrev_b64 v[0:1], 2, v[32:33]
	s_waitcnt vmcnt(14)
	v_lshrrev_b32_e32 v18, 16, v4
	v_add_co_u32_e64 v0, s[2:3], v42, v0
	v_addc_co_u32_e64 v1, s[2:3], v43, v1, s[2:3]
	global_load_dword v42, v[0:1], off
	s_waitcnt vmcnt(14)
	v_lshrrev_b32_e32 v19, 16, v5
	s_waitcnt vmcnt(13)
	v_lshrrev_b32_e32 v20, 16, v12
	;; [unrolled: 2-line block ×15, first 2 shown]
.LBB0_11:
	s_or_b64 exec, exec, s[6:7]
	v_sub_f16_e32 v46, v18, v26
	s_mov_b32 s16, 0xb836b1e1
	v_add_f16_e32 v45, v4, v42
	v_sub_f16_e32 v2, v19, v27
	s_mov_b32 s6, 0xbacdbbdd
	v_pk_mul_f16 v0, v46, s16 op_sel_hi:[0,1]
	s_mov_b32 s17, 0x3b2935c8
	v_add_f16_e32 v1, v5, v41
	v_sub_f16_e32 v44, v20, v28
	v_pk_fma_f16 v11, v45, s6, v0 op_sel_hi:[0,1,1] neg_lo:[0,0,1] neg_hi:[0,0,1]
	s_mov_b32 s7, 0x37223b76
	v_pk_mul_f16 v56, v2, s17 op_sel_hi:[0,1]
	s_mov_b32 s19, 0xbbf7b836
	v_add_f16_e32 v43, v12, v40
	v_pk_add_f16 v11, v3, v11 op_sel_hi:[0,1]
	v_pk_fma_f16 v47, v1, s7, v56 op_sel_hi:[0,1,1] neg_lo:[0,0,1] neg_hi:[0,0,1]
	s_mov_b32 s8, 0x2de8bacd
	v_pk_mul_f16 v57, v44, s19 op_sel_hi:[0,1]
	v_pk_add_f16 v11, v11, v47
	v_pk_fma_f16 v47, v43, s8, v57 op_sel_hi:[0,1,1] neg_lo:[0,0,1] neg_hi:[0,0,1]
	s_mov_b32 s23, 0x3a623964
	v_sub_f16_e32 v48, v21, v29
	v_pk_add_f16 v11, v11, v47
	v_add_f16_e32 v47, v13, v39
	s_mov_b32 s9, 0xb8d239e9
	v_pk_mul_f16 v58, v48, s23 op_sel_hi:[0,1]
	v_pk_fma_f16 v49, v47, s9, v58 op_sel_hi:[0,1,1] neg_lo:[0,0,1] neg_hi:[0,0,1]
	s_mov_b32 s24, 0xb5c8ba62
	v_sub_f16_e32 v50, v22, v30
	v_pk_add_f16 v11, v11, v49
	s_mov_b32 s15, 0x3b76b8d2
	v_add_f16_e32 v49, v14, v38
	v_pk_mul_f16 v59, v50, s24 op_sel_hi:[0,1]
	v_pk_fma_f16 v51, v49, s15, v59 op_sel_hi:[0,1,1] neg_lo:[0,0,1] neg_hi:[0,0,1]
	s_mov_b32 s25, 0xb1e13b29
	v_sub_f16_e32 v52, v23, v31
	v_pk_add_f16 v11, v11, v51
	s_mov_b32 s18, 0xbbdd3722
	v_add_f16_e32 v51, v15, v37
	;; [unrolled: 7-line block ×3, first 2 shown]
	v_pk_mul_f16 v61, v54, s26 op_sel_hi:[0,1]
	v_pk_fma_f16 v55, v53, s22, v61 op_sel_hi:[0,1,1] neg_lo:[0,0,1] neg_hi:[0,0,1]
	v_pk_add_f16 v65, v11, v55
	v_pk_fma_f16 v55, v45, s6, v0 op_sel_hi:[0,1,1]
	v_pk_fma_f16 v56, v1, s7, v56 op_sel_hi:[0,1,1]
	v_add_f16_e32 v0, v3, v55
	v_add_f16_e32 v0, v0, v56
	v_pk_fma_f16 v57, v43, s8, v57 op_sel_hi:[0,1,1]
	v_add_f16_e32 v0, v0, v57
	v_pk_fma_f16 v58, v47, s9, v58 op_sel_hi:[0,1,1]
	;; [unrolled: 2-line block ×4, first 2 shown]
	s_mov_b32 s27, 0xb4612de8
	v_add_f16_e32 v63, v34, v35
	v_add_f16_e32 v0, v0, v60
	v_pk_fma_f16 v61, v53, s22, v61 op_sel_hi:[0,1,1]
	s_mov_b32 s28, 0xbbb23bf7
	v_sub_f16_e32 v64, v25, v33
	v_pk_mul_f16 v11, v63, s27 op_sel_hi:[0,1]
	v_add_f16_e32 v0, v0, v61
	v_pk_fma_f16 v66, v64, s28, v11 op_sel_hi:[0,1,1] neg_lo:[1,0,0] neg_hi:[1,0,0]
	v_pk_fma_f16 v62, v64, s28, v11 op_sel_hi:[0,1,1]
	s_mov_b32 s14, 0x5040100
	v_add_f16_e32 v11, v0, v62
	v_pk_add_f16 v0, v65, v66
	s_and_saveexec_b64 s[2:3], s[0:1]
	s_cbranch_execz .LBB0_13
; %bb.12:
	v_pack_b32_f16 v65, v45, v45
	v_pack_b32_f16 v45, v46, v46
	v_pack_b32_f16 v67, v1, v1
	v_pack_b32_f16 v1, v2, v2
	v_pack_b32_f16 v68, v43, v43
	v_pack_b32_f16 v2, v44, v44
	v_pack_b32_f16 v43, v48, v48
	v_pack_b32_f16 v48, v49, v49
	v_pack_b32_f16 v44, v50, v50
	v_pack_b32_f16 v49, v51, v51
	v_pack_b32_f16 v50, v53, v53
	v_pack_b32_f16 v51, v54, v54
	v_pack_b32_f16 v53, v64, v64
	v_add_f16_sdwa v54, v3, v55 dst_sel:DWORD dst_unused:UNUSED_PAD src0_sel:DWORD src1_sel:WORD_1
	s_mov_b32 s46, 0x3964b836
	s_mov_b32 s47, 0xb964b5c8
	v_add_f16_sdwa v54, v54, v56 dst_sel:DWORD dst_unused:UNUSED_PAD src0_sel:DWORD src1_sel:WORD_1
	s_mov_b32 s33, 0xb5c83964
	s_mov_b32 s41, 0x3bb231e1
	v_pk_mul_f16 v74, v53, s46
	s_mov_b32 s46, 0x39e93b76
	v_pk_mul_f16 v75, v45, s47
	s_mov_b32 s48, 0xbbf7b964
	s_mov_b32 s49, 0xba62bb29
	v_perm_b32 v66, v3, v3, s14
	v_add_f16_sdwa v54, v54, v57 dst_sel:DWORD dst_unused:UNUSED_PAD src0_sel:DWORD src1_sel:WORD_1
	s_mov_b32 s31, 0x3bb23836
	v_pk_mul_f16 v57, v2, s33
	s_mov_b32 s40, 0xb1e1ba62
	v_pk_mul_f16 v69, v2, s41
	;; [unrolled: 2-line block ×3, first 2 shown]
	v_pk_mul_f16 v77, v2, s49
	v_pk_fma_f16 v2, v65, s46, v75
	v_pk_mul_f16 v56, v1, s31
	v_pk_mul_f16 v64, v1, s40
	s_mov_b32 s48, 0xb8d23722
	s_mov_b32 s50, 0xb1e1bbf7
	v_add_f16_e32 v1, v3, v4
	v_pk_add_f16 v2, v66, v2
	v_pk_fma_f16 v3, v67, s47, v76
	v_pack_b32_f16 v47, v47, v47
	v_add_f16_sdwa v54, v54, v58 dst_sel:DWORD dst_unused:UNUSED_PAD src0_sel:DWORD src1_sel:WORD_1
	s_mov_b32 s49, 0xbbdd2de8
	v_pk_mul_f16 v78, v43, s50
	s_mov_b32 s51, 0x3836bbb2
	v_pk_add_f16 v2, v2, v3
	v_pk_fma_f16 v3, v68, s48, v77
	v_pack_b32_f16 v46, v52, v52
	v_add_f16_sdwa v54, v54, v59 dst_sel:DWORD dst_unused:UNUSED_PAD src0_sel:DWORD src1_sel:WORD_1
	s_mov_b32 s50, 0xbacdb461
	v_pk_mul_f16 v79, v44, s51
	s_mov_b32 s52, 0x3bb2ba62
	v_pk_add_f16 v2, v2, v3
	v_pk_fma_f16 v3, v47, s49, v78
	v_add_f16_sdwa v54, v54, v60 dst_sel:DWORD dst_unused:UNUSED_PAD src0_sel:DWORD src1_sel:WORD_1
	s_mov_b32 s37, 0xb1e1b5c8
	s_mov_b32 s45, 0x3a62bbf7
	;; [unrolled: 1-line block ×3, first 2 shown]
	v_pk_mul_f16 v80, v46, s52
	s_mov_b32 s53, 0x3b29b836
	v_pk_add_f16 v2, v2, v3
	v_pk_fma_f16 v3, v48, s50, v79
	v_add_f16_sdwa v54, v54, v61 dst_sel:DWORD dst_unused:UNUSED_PAD src0_sel:DWORD src1_sel:WORD_1
	v_pk_mul_f16 v61, v51, s37
	s_mov_b32 s38, 0x3b29ba62
	v_pk_mul_f16 v73, v51, s45
	s_mov_b32 s52, 0x3722bacd
	;; [unrolled: 2-line block ×3, first 2 shown]
	v_pk_add_f16 v2, v2, v3
	v_pk_fma_f16 v3, v49, s51, v80
	v_pack_b32_f16 v52, v63, v63
	v_add_f16_sdwa v54, v54, v62 dst_sel:DWORD dst_unused:UNUSED_PAD src0_sel:DWORD src1_sel:WORD_1
	v_pk_mul_f16 v62, v53, s38
	s_mov_b32 s39, 0xbbf7bb29
	s_mov_b32 s53, 0x3b76bbdd
	v_pk_mul_f16 v53, v53, s54
	v_pk_add_f16 v2, v2, v3
	v_pk_fma_f16 v3, v50, s52, v51
	s_mov_b32 s38, 0x2de83722
	v_pk_mul_f16 v63, v45, s39
	v_pk_add_f16 v2, v2, v3
	v_pk_fma_f16 v3, v52, s53, v53
	s_mov_b32 s34, 0xb836bb29
	s_mov_b32 s39, 0xbbddb8d2
	;; [unrolled: 1-line block ×3, first 2 shown]
	v_pk_add_f16 v2, v2, v3
	v_pk_fma_f16 v3, v65, s38, v63
	v_pk_mul_f16 v58, v43, s34
	s_mov_b32 s40, 0xb461bbdd
	v_pk_mul_f16 v70, v43, s42
	v_pk_add_f16 v3, v66, v3
	v_pk_fma_f16 v43, v67, s39, v64
	s_mov_b32 s41, 0x3b76b461
	s_mov_b32 s43, 0xbb293964
	v_add_f16_e32 v1, v1, v5
	v_pk_add_f16 v3, v3, v43
	v_pk_fma_f16 v43, v68, s40, v69
	s_mov_b32 s42, 0x372239e9
	v_pk_mul_f16 v71, v44, s43
	s_mov_b32 s44, 0xb836b5c8
	v_add_f16_e32 v1, v1, v12
	v_pk_add_f16 v3, v3, v43
	v_pk_fma_f16 v43, v47, s41, v70
	s_mov_b32 s43, 0xbacd3b76
	v_pk_mul_f16 v72, v46, s44
	v_add_f16_e32 v1, v1, v13
	v_pk_add_f16 v3, v3, v43
	v_pk_fma_f16 v43, v48, s42, v71
	s_mov_b32 s44, 0xb8d22de8
	v_add_f16_e32 v1, v1, v14
	v_pk_add_f16 v3, v3, v43
	v_pk_fma_f16 v43, v49, s43, v72
	s_mov_b32 s30, 0xba62bbb2
	s_mov_b32 s45, 0x39e9bacd
	v_add_f16_e32 v1, v1, v15
	v_pk_add_f16 v3, v3, v43
	v_pk_fma_f16 v43, v50, s44, v73
	s_mov_b32 s29, 0xb8d2b461
	v_pk_mul_f16 v55, v45, s30
	v_add_f16_e32 v1, v1, v16
	v_pk_add_f16 v3, v3, v43
	v_pk_fma_f16 v43, v52, s45, v74
	s_mov_b32 s30, 0xb461bacd
	s_mov_b32 s35, 0x3bf7b1e1
	v_add_f16_e32 v1, v1, v34
	v_pk_add_f16 v3, v3, v43
	v_pk_fma_f16 v43, v65, s29, v55
	s_mov_b32 s31, 0x3b7639e9
	v_pk_mul_f16 v59, v44, s35
	v_add_f16_e32 v1, v1, v35
	v_pk_add_f16 v43, v66, v43
	v_pk_fma_f16 v44, v67, s30, v56
	s_mov_b32 s33, 0xbacd3722
	v_add_f16_e32 v1, v36, v1
	v_pk_add_f16 v43, v43, v44
	v_pk_fma_f16 v44, v68, s31, v57
	s_mov_b32 s34, 0x2de8bbdd
	s_mov_b32 s36, 0xb9643bf7
	v_add_f16_e32 v1, v37, v1
	v_pk_add_f16 v43, v43, v44
	v_pk_fma_f16 v44, v47, s33, v58
	s_mov_b32 s35, 0x39e92de8
	v_pk_mul_f16 v60, v46, s36
	v_add_f16_e32 v1, v38, v1
	v_pk_add_f16 v43, v43, v44
	v_pk_fma_f16 v44, v48, s34, v59
	s_mov_b32 s36, 0xbbdd3b76
	v_add_f16_e32 v1, v39, v1
	v_pk_add_f16 v43, v43, v44
	v_pk_fma_f16 v44, v49, s35, v60
	s_mov_b32 s37, 0x3722b8d2
	v_add_f16_e32 v1, v40, v1
	v_pk_add_f16 v43, v43, v44
	v_pk_fma_f16 v44, v50, s36, v61
	v_add_f16_e32 v1, v41, v1
	v_pk_add_f16 v43, v43, v44
	v_pk_fma_f16 v44, v52, s37, v62
	v_add_f16_e32 v1, v42, v1
	v_pk_add_f16 v43, v43, v44
	v_alignbit_b32 v46, v54, v43, 16
	v_alignbit_b32 v45, v43, v3, 16
	v_pack_b32_f16 v43, v1, v2
	v_pk_fma_f16 v1, v65, s29, v55 neg_lo:[0,0,1] neg_hi:[0,0,1]
	v_alignbit_b32 v44, v3, v2, 16
	v_pk_add_f16 v1, v66, v1
	v_pk_fma_f16 v2, v67, s30, v56 neg_lo:[0,0,1] neg_hi:[0,0,1]
	v_pk_add_f16 v1, v1, v2
	v_pk_fma_f16 v2, v68, s31, v57 neg_lo:[0,0,1] neg_hi:[0,0,1]
	;; [unrolled: 2-line block ×15, first 2 shown]
	v_mad_u32_u24 v81, v10, 34, 0
	v_pk_add_f16 v2, v2, v3
	v_pk_fma_f16 v3, v65, s46, v75 neg_lo:[0,0,1] neg_hi:[0,0,1]
	ds_write_b128 v81, v[43:46]
	ds_write_b16 v81, v11 offset:16
	v_pk_add_f16 v3, v66, v3
	v_pk_fma_f16 v43, v67, s47, v76 neg_lo:[0,0,1] neg_hi:[0,0,1]
	v_pk_add_f16 v3, v3, v43
	v_pk_fma_f16 v43, v68, s48, v77 neg_lo:[0,0,1] neg_hi:[0,0,1]
	;; [unrolled: 2-line block ×7, first 2 shown]
	v_pk_add_f16 v3, v3, v43
	v_alignbit_b32 v1, v1, v1, 16
	v_alignbit_b32 v2, v2, v2, 16
	;; [unrolled: 1-line block ×3, first 2 shown]
	ds_write_b128 v81, v[0:3] offset:18
.LBB0_13:
	s_or_b64 exec, exec, s[2:3]
	v_sub_f16_e32 v50, v4, v42
	v_add_f16_e32 v49, v18, v26
	v_sub_f16_e32 v3, v5, v41
	v_pk_mul_f16 v1, v50, s16 op_sel_hi:[0,1]
	v_add_f16_e32 v2, v19, v27
	v_sub_f16_e32 v5, v12, v40
	v_sub_f16_e32 v39, v13, v39
	v_pk_fma_f16 v12, v49, s6, v1 op_sel_hi:[0,1,1]
	v_pk_mul_f16 v13, v3, s17 op_sel_hi:[0,1]
	v_sub_f16_e32 v42, v14, v38
	v_pk_add_f16 v12, v17, v12 op_sel_hi:[0,1]
	v_pk_fma_f16 v14, v2, s7, v13 op_sel_hi:[0,1,1]
	v_add_f16_e32 v4, v20, v28
	v_pk_add_f16 v12, v12, v14
	v_pk_mul_f16 v14, v5, s19 op_sel_hi:[0,1]
	v_sub_f16_e32 v44, v15, v37
	v_pk_fma_f16 v15, v4, s8, v14 op_sel_hi:[0,1,1]
	v_add_f16_e32 v40, v21, v29
	v_pk_add_f16 v12, v12, v15
	v_pk_mul_f16 v15, v39, s23 op_sel_hi:[0,1]
	v_sub_f16_e32 v46, v16, v36
	v_pk_fma_f16 v16, v40, s9, v15 op_sel_hi:[0,1,1]
	v_pk_fma_f16 v1, v49, s6, v1 op_sel_hi:[0,1,1] neg_lo:[0,0,1] neg_hi:[0,0,1]
	v_add_f16_e32 v41, v22, v30
	v_pk_add_f16 v12, v12, v16
	v_pk_mul_f16 v16, v42, s24 op_sel_hi:[0,1]
	v_pk_add_f16 v1, v17, v1 op_sel_hi:[0,1]
	v_pk_fma_f16 v13, v2, s7, v13 op_sel_hi:[0,1,1] neg_lo:[0,0,1] neg_hi:[0,0,1]
	v_sub_f16_e32 v48, v34, v35
	v_pk_fma_f16 v34, v41, s15, v16 op_sel_hi:[0,1,1]
	v_pk_add_f16 v1, v1, v13
	v_pk_fma_f16 v13, v4, s8, v14 op_sel_hi:[0,1,1] neg_lo:[0,0,1] neg_hi:[0,0,1]
	v_add_f16_e32 v43, v23, v31
	v_pk_add_f16 v12, v12, v34
	v_pk_mul_f16 v34, v44, s25 op_sel_hi:[0,1]
	v_pk_add_f16 v1, v1, v13
	v_pk_fma_f16 v13, v40, s9, v15 op_sel_hi:[0,1,1] neg_lo:[0,0,1] neg_hi:[0,0,1]
	v_pk_fma_f16 v35, v43, s18, v34 op_sel_hi:[0,1,1]
	v_pk_add_f16 v1, v1, v13
	v_pk_fma_f16 v13, v41, s15, v16 op_sel_hi:[0,1,1] neg_lo:[0,0,1] neg_hi:[0,0,1]
	v_add_f16_e32 v45, v24, v32
	v_pk_add_f16 v12, v12, v35
	v_pk_mul_f16 v35, v46, s26 op_sel_hi:[0,1]
	v_pk_add_f16 v1, v1, v13
	v_pk_fma_f16 v13, v43, s18, v34 op_sel_hi:[0,1,1] neg_lo:[0,0,1] neg_hi:[0,0,1]
	v_pk_add_f16 v1, v1, v13
	v_pk_fma_f16 v13, v45, s22, v35 op_sel_hi:[0,1,1] neg_lo:[0,0,1] neg_hi:[0,0,1]
	v_pk_fma_f16 v36, v45, s22, v35 op_sel_hi:[0,1,1]
	v_pk_add_f16 v1, v1, v13
	v_lshl_add_u32 v13, v10, 1, 0
	v_pk_add_f16 v51, v12, v36
	s_waitcnt lgkmcnt(0)
	s_barrier
	ds_read_u16 v15, v13
	ds_read_u16 v38, v13 offset:374
	ds_read_u16 v37, v13 offset:748
	;; [unrolled: 1-line block ×7, first 2 shown]
	v_add_f16_e32 v47, v25, v33
	v_pk_mul_f16 v12, v48, s28 op_sel_hi:[0,1]
	v_pk_fma_f16 v52, v47, s27, v12 op_sel_hi:[0,1,1]
	v_pk_fma_f16 v12, v47, s27, v12 op_sel_hi:[0,1,1] neg_lo:[0,0,1] neg_hi:[0,0,1]
	v_pk_add_f16 v12, v1, v12
	v_pk_add_f16 v1, v51, v52
	s_waitcnt lgkmcnt(0)
	s_barrier
	s_and_saveexec_b64 s[2:3], s[0:1]
	s_cbranch_execz .LBB0_15
; %bb.14:
	v_pack_b32_f16 v52, v2, v2
	v_add_f16_e32 v2, v17, v18
	v_add_f16_e32 v2, v2, v19
	v_add_f16_e32 v2, v2, v20
	v_add_f16_e32 v2, v2, v21
	v_add_f16_e32 v2, v2, v22
	v_add_f16_e32 v2, v2, v23
	v_add_f16_e32 v2, v2, v24
	v_add_f16_e32 v2, v2, v25
	v_add_f16_e32 v2, v2, v33
	v_add_f16_e32 v2, v32, v2
	v_add_f16_e32 v2, v31, v2
	v_add_f16_e32 v2, v30, v2
	v_add_f16_e32 v2, v29, v2
	v_pack_b32_f16 v50, v50, v50
	v_add_f16_e32 v2, v28, v2
	s_mov_b32 s1, 0xb964b5c8
	v_pack_b32_f16 v49, v49, v49
	v_pack_b32_f16 v53, v3, v3
	v_add_f16_e32 v2, v27, v2
	s_mov_b32 s0, 0x39e93b76
	v_pk_mul_f16 v3, v50, s1
	s_mov_b32 s6, 0xbbf7b964
	v_perm_b32 v51, v17, v17, s14
	v_add_f16_e32 v17, v26, v2
	v_pk_fma_f16 v2, v49, s0, v3 neg_lo:[0,0,1] neg_hi:[0,0,1]
	s_mov_b32 s1, 0x2de839e9
	v_pk_mul_f16 v18, v53, s6
	v_pack_b32_f16 v54, v4, v4
	v_pack_b32_f16 v4, v5, v5
	v_pk_add_f16 v2, v51, v2
	v_pk_fma_f16 v19, v52, s1, v18 neg_lo:[0,0,1] neg_hi:[0,0,1]
	s_mov_b32 s7, 0xba62bb29
	v_pk_add_f16 v2, v2, v19
	s_mov_b32 s6, 0xb8d23722
	v_pk_mul_f16 v19, v4, s7
	v_pack_b32_f16 v39, v39, v39
	v_pk_fma_f16 v20, v54, s6, v19 neg_lo:[0,0,1] neg_hi:[0,0,1]
	s_mov_b32 s8, 0xb1e1bbf7
	v_pack_b32_f16 v5, v40, v40
	v_pk_add_f16 v2, v2, v20
	s_mov_b32 s7, 0xbbdd2de8
	v_pk_mul_f16 v20, v39, s8
	v_pack_b32_f16 v40, v41, v41
	v_pack_b32_f16 v41, v42, v42
	v_pk_fma_f16 v21, v5, s7, v20 neg_lo:[0,0,1] neg_hi:[0,0,1]
	s_mov_b32 s9, 0x3836bbb2
	v_pk_add_f16 v2, v2, v21
	s_mov_b32 s8, 0xbacdb461
	v_pk_mul_f16 v21, v41, s9
	v_pk_fma_f16 v3, v49, s0, v3
	v_pack_b32_f16 v42, v43, v43
	v_pack_b32_f16 v43, v44, v44
	v_pk_fma_f16 v22, v40, s8, v21 neg_lo:[0,0,1] neg_hi:[0,0,1]
	s_mov_b32 s14, 0x3bb2ba62
	v_pk_add_f16 v3, v51, v3
	v_pk_fma_f16 v18, v52, s1, v18
	v_pk_add_f16 v2, v2, v22
	s_mov_b32 s9, 0xb461b8d2
	v_pk_mul_f16 v22, v43, s14
	v_pk_add_f16 v3, v3, v18
	v_pk_fma_f16 v18, v54, s6, v19
	v_pack_b32_f16 v44, v45, v45
	v_pack_b32_f16 v45, v46, v46
	v_pk_fma_f16 v23, v42, s9, v22 neg_lo:[0,0,1] neg_hi:[0,0,1]
	s_mov_b32 s15, 0x3b29b836
	v_pk_add_f16 v3, v3, v18
	v_pk_fma_f16 v18, v5, s7, v20
	v_pk_add_f16 v2, v2, v23
	s_mov_b32 s14, 0x3722bacd
	v_pk_mul_f16 v23, v45, s15
	v_pk_add_f16 v3, v3, v18
	;; [unrolled: 11-line block ×3, first 2 shown]
	v_pk_fma_f16 v18, v44, s14, v23
	s_mov_b32 s1, 0xbbf7bb29
	v_pk_add_f16 v3, v3, v18
	v_pk_fma_f16 v18, v46, s15, v24
	s_mov_b32 s0, 0x2de83722
	v_pk_mul_f16 v19, v50, s1
	s_mov_b32 s6, 0xb1e1ba62
	v_pk_add_f16 v18, v3, v18
	v_pk_fma_f16 v3, v49, s0, v19 neg_lo:[0,0,1] neg_hi:[0,0,1]
	s_mov_b32 s1, 0xbbddb8d2
	v_pk_mul_f16 v20, v53, s6
	v_pk_add_f16 v3, v51, v3
	v_pk_fma_f16 v21, v52, s1, v20 neg_lo:[0,0,1] neg_hi:[0,0,1]
	s_mov_b32 s7, 0x3bb231e1
	v_pk_add_f16 v3, v3, v21
	s_mov_b32 s6, 0xb461bbdd
	v_pk_mul_f16 v21, v4, s7
	v_pk_fma_f16 v22, v54, s6, v21 neg_lo:[0,0,1] neg_hi:[0,0,1]
	s_mov_b32 s8, 0x35c83bb2
	v_pk_add_f16 v3, v3, v22
	s_mov_b32 s7, 0x3b76b461
	v_pk_mul_f16 v22, v39, s8
	;; [unrolled: 5-line block ×3, first 2 shown]
	v_pk_fma_f16 v19, v49, s0, v19
	v_pk_fma_f16 v25, v46, s15, v24 neg_lo:[0,0,1] neg_hi:[0,0,1]
	v_pk_fma_f16 v24, v40, s8, v23 neg_lo:[0,0,1] neg_hi:[0,0,1]
	s_mov_b32 s14, 0xb836b5c8
	v_pk_add_f16 v19, v51, v19
	v_pk_fma_f16 v20, v52, s1, v20
	v_pk_add_f16 v3, v3, v24
	s_mov_b32 s9, 0xbacd3b76
	v_pk_mul_f16 v24, v43, s14
	v_pk_add_f16 v19, v19, v20
	v_pk_fma_f16 v20, v54, s6, v21
	v_pk_add_f16 v2, v2, v25
	v_pk_fma_f16 v25, v42, s9, v24 neg_lo:[0,0,1] neg_hi:[0,0,1]
	s_mov_b32 s15, 0x3a62bbf7
	v_pk_add_f16 v19, v19, v20
	v_pk_fma_f16 v20, v5, s7, v22
	v_pk_add_f16 v3, v3, v25
	s_mov_b32 s14, 0xb8d22de8
	v_pk_mul_f16 v25, v45, s15
	v_pk_add_f16 v19, v19, v20
	v_pk_fma_f16 v20, v40, s8, v23
	v_pk_fma_f16 v26, v44, s14, v25 neg_lo:[0,0,1] neg_hi:[0,0,1]
	s_mov_b32 s16, 0x3964b836
	v_pk_add_f16 v19, v19, v20
	v_pk_fma_f16 v20, v42, s9, v24
	v_pk_add_f16 v3, v3, v26
	s_mov_b32 s15, 0x39e9bacd
	v_pk_mul_f16 v26, v47, s16
	v_pk_add_f16 v19, v19, v20
	v_pk_fma_f16 v20, v44, s14, v25
	v_pk_add_f16 v19, v19, v20
	v_pk_fma_f16 v20, v46, s15, v26
	s_mov_b32 s1, 0xba62bbb2
	v_pk_add_f16 v19, v19, v20
	s_mov_b32 s0, 0xb8d2b461
	v_pk_mul_f16 v20, v50, s1
	s_mov_b32 s6, 0x3bb23836
	v_pk_fma_f16 v21, v49, s0, v20 neg_lo:[0,0,1] neg_hi:[0,0,1]
	s_mov_b32 s1, 0xb461bacd
	v_pk_mul_f16 v22, v53, s6
	v_pk_add_f16 v21, v51, v21
	v_pk_fma_f16 v23, v52, s1, v22 neg_lo:[0,0,1] neg_hi:[0,0,1]
	s_mov_b32 s7, 0xb5c83964
	v_pk_add_f16 v21, v21, v23
	s_mov_b32 s6, 0x3b7639e9
	v_pk_mul_f16 v23, v4, s7
	v_pk_fma_f16 v4, v54, s6, v23 neg_lo:[0,0,1] neg_hi:[0,0,1]
	s_mov_b32 s8, 0xb836bb29
	v_pk_add_f16 v4, v21, v4
	s_mov_b32 s7, 0xbacd3722
	v_pk_mul_f16 v21, v39, s8
	;; [unrolled: 5-line block ×3, first 2 shown]
	v_pk_fma_f16 v20, v49, s0, v20
	v_pk_fma_f16 v25, v40, s8, v24 neg_lo:[0,0,1] neg_hi:[0,0,1]
	s_mov_b32 s14, 0xb9643bf7
	v_pk_add_f16 v20, v51, v20
	v_pk_fma_f16 v22, v52, s1, v22
	v_pk_add_f16 v4, v4, v25
	s_mov_b32 s9, 0x39e92de8
	v_pk_mul_f16 v25, v43, s14
	v_pk_add_f16 v20, v20, v22
	v_pk_fma_f16 v22, v54, s6, v23
	v_pk_fma_f16 v27, v46, s15, v26 neg_lo:[0,0,1] neg_hi:[0,0,1]
	v_pk_fma_f16 v26, v42, s9, v25 neg_lo:[0,0,1] neg_hi:[0,0,1]
	s_mov_b32 s15, 0xb1e1b5c8
	v_pk_add_f16 v20, v20, v22
	v_pk_fma_f16 v5, v5, s7, v21
	v_pk_add_f16 v4, v4, v26
	s_mov_b32 s14, 0xbbdd3b76
	v_pk_mul_f16 v26, v45, s15
	v_pk_add_f16 v5, v20, v5
	v_pk_fma_f16 v20, v40, s8, v24
	v_pk_add_f16 v3, v3, v27
	v_pk_fma_f16 v27, v44, s14, v26 neg_lo:[0,0,1] neg_hi:[0,0,1]
	s_mov_b32 s16, 0x3b29ba62
	v_pk_add_f16 v5, v5, v20
	v_pk_fma_f16 v20, v42, s9, v25
	v_pk_add_f16 v4, v4, v27
	s_mov_b32 s15, 0x3722b8d2
	v_pk_mul_f16 v27, v47, s16
	v_pk_add_f16 v5, v5, v20
	v_pk_fma_f16 v20, v44, s14, v26
	v_pk_fma_f16 v28, v46, s15, v27 neg_lo:[0,0,1] neg_hi:[0,0,1]
	v_pk_add_f16 v5, v5, v20
	v_pk_fma_f16 v20, v46, s15, v27
	v_pk_add_f16 v4, v4, v28
	v_pk_add_f16 v20, v5, v20
	v_lshl_add_u32 v21, v10, 5, v13
	v_alignbit_b32 v5, v12, v12, 16
	ds_write_b128 v21, v[2:5] offset:2
	v_alignbit_b32 v2, v20, v20, 16
	v_alignbit_b32 v3, v19, v19, 16
	;; [unrolled: 1-line block ×3, first 2 shown]
	ds_write_b16 v21, v17
	ds_write_b128 v21, v[1:4] offset:18
.LBB0_15:
	s_or_b64 exec, exec, s[2:3]
	s_movk_i32 s0, 0xf1
	v_mul_lo_u16_sdwa v2, v10, s0 dst_sel:DWORD dst_unused:UNUSED_PAD src0_sel:BYTE_0 src1_sel:DWORD
	v_lshrrev_b16_e32 v20, 12, v2
	v_mul_lo_u16_e32 v2, 17, v20
	v_sub_u16_e32 v23, v10, v2
	v_mov_b32_e32 v2, 7
	v_mul_u32_u24_sdwa v2, v23, v2 dst_sel:DWORD dst_unused:UNUSED_PAD src0_sel:BYTE_0 src1_sel:DWORD
	v_lshlrev_b32_e32 v21, 2, v2
	s_load_dwordx2 s[2:3], s[4:5], 0x0
	s_waitcnt lgkmcnt(0)
	s_barrier
	global_load_dwordx4 v[2:5], v21, s[12:13]
	global_load_dwordx3 v[17:19], v21, s[12:13] offset:16
	ds_read_u16 v21, v13
	ds_read_u16 v24, v13 offset:374
	ds_read_u16 v25, v13 offset:748
	;; [unrolled: 1-line block ×7, first 2 shown]
	v_mov_b32_e32 v26, 1
	v_mul_u32_u24_e32 v20, 0x110, v20
	v_lshlrev_b32_sdwa v23, v26, v23 dst_sel:DWORD dst_unused:UNUSED_PAD src0_sel:DWORD src1_sel:BYTE_0
	v_add3_u32 v26, 0, v20, v23
	s_movk_i32 s0, 0x39a8
	s_mov_b32 s1, 0xb9a8
	s_waitcnt vmcnt(0) lgkmcnt(0)
	s_barrier
	v_mul_f16_sdwa v20, v24, v2 dst_sel:DWORD dst_unused:UNUSED_PAD src0_sel:DWORD src1_sel:WORD_1
	v_mul_f16_sdwa v23, v38, v2 dst_sel:DWORD dst_unused:UNUSED_PAD src0_sel:DWORD src1_sel:WORD_1
	v_mul_f16_sdwa v31, v25, v3 dst_sel:DWORD dst_unused:UNUSED_PAD src0_sel:DWORD src1_sel:WORD_1
	v_mul_f16_sdwa v32, v37, v3 dst_sel:DWORD dst_unused:UNUSED_PAD src0_sel:DWORD src1_sel:WORD_1
	v_mul_f16_sdwa v33, v27, v4 dst_sel:DWORD dst_unused:UNUSED_PAD src0_sel:DWORD src1_sel:WORD_1
	v_mul_f16_sdwa v39, v36, v4 dst_sel:DWORD dst_unused:UNUSED_PAD src0_sel:DWORD src1_sel:WORD_1
	v_mul_f16_sdwa v40, v22, v5 dst_sel:DWORD dst_unused:UNUSED_PAD src0_sel:DWORD src1_sel:WORD_1
	v_mul_f16_sdwa v41, v28, v17 dst_sel:DWORD dst_unused:UNUSED_PAD src0_sel:DWORD src1_sel:WORD_1
	v_mul_f16_sdwa v42, v35, v17 dst_sel:DWORD dst_unused:UNUSED_PAD src0_sel:DWORD src1_sel:WORD_1
	v_mul_f16_sdwa v43, v29, v18 dst_sel:DWORD dst_unused:UNUSED_PAD src0_sel:DWORD src1_sel:WORD_1
	v_mul_f16_sdwa v44, v34, v18 dst_sel:DWORD dst_unused:UNUSED_PAD src0_sel:DWORD src1_sel:WORD_1
	v_mul_f16_sdwa v45, v30, v19 dst_sel:DWORD dst_unused:UNUSED_PAD src0_sel:DWORD src1_sel:WORD_1
	v_mul_f16_sdwa v46, v16, v19 dst_sel:DWORD dst_unused:UNUSED_PAD src0_sel:DWORD src1_sel:WORD_1
	v_fma_f16 v20, v38, v2, v20
	v_fma_f16 v2, v24, v2, -v23
	v_fma_f16 v31, v37, v3, v31
	v_fma_f16 v3, v25, v3, -v32
	;; [unrolled: 2-line block ×3, first 2 shown]
	v_fma_f16 v23, v14, v5, v40
	v_fma_f16 v25, v35, v17, v41
	v_fma_f16 v17, v28, v17, -v42
	v_fma_f16 v24, v34, v18, v43
	v_fma_f16 v18, v29, v18, -v44
	;; [unrolled: 2-line block ×3, first 2 shown]
	v_sub_f16_e32 v27, v15, v23
	v_sub_f16_e32 v23, v31, v24
	v_sub_f16_e32 v24, v3, v18
	v_sub_f16_e32 v18, v20, v25
	v_sub_f16_e32 v17, v2, v17
	v_sub_f16_e32 v16, v32, v16
	v_sub_f16_e32 v19, v4, v19
	v_fma_f16 v15, v15, 2.0, -v27
	v_fma_f16 v28, v31, 2.0, -v23
	;; [unrolled: 1-line block ×6, first 2 shown]
	v_add_f16_e32 v33, v27, v24
	v_add_f16_e32 v19, v18, v19
	v_sub_f16_e32 v16, v17, v16
	v_sub_f16_e32 v34, v15, v28
	v_fma_f16 v35, v27, 2.0, -v33
	v_sub_f16_e32 v27, v20, v2
	v_fma_f16 v2, v18, 2.0, -v19
	;; [unrolled: 2-line block ×3, first 2 shown]
	v_fma_f16 v17, v19, s0, v33
	v_fma_f16 v36, v15, 2.0, -v34
	v_fma_f16 v15, v20, 2.0, -v27
	v_mul_f16_e32 v31, 0x39a8, v2
	v_fma_f16 v2, v2, s1, v35
	v_mul_f16_e32 v29, 0x39a8, v16
	v_add_f16_e32 v4, v34, v30
	v_fma_f16 v17, v16, s0, v17
	v_sub_f16_e32 v16, v36, v15
	v_fma_f16 v15, v18, s0, v2
	s_movk_i32 s0, 0x88
	v_mul_f16_e32 v28, 0x39a8, v19
	v_mul_f16_e32 v32, 0x39a8, v18
	v_fma_f16 v19, v34, 2.0, -v4
	v_fma_f16 v18, v33, 2.0, -v17
	;; [unrolled: 1-line block ×4, first 2 shown]
	v_cmp_gt_u32_e64 s[0:1], s0, v10
	ds_write_b16 v26, v2
	ds_write_b16 v26, v20 offset:34
	ds_write_b16 v26, v19 offset:68
	ds_write_b16 v26, v18 offset:102
	ds_write_b16 v26, v16 offset:136
	ds_write_b16 v26, v15 offset:170
	ds_write_b16 v26, v4 offset:204
	ds_write_b16 v26, v17 offset:238
	s_waitcnt lgkmcnt(0)
	s_barrier
	s_and_saveexec_b64 s[4:5], s[0:1]
	s_cbranch_execz .LBB0_17
; %bb.16:
	ds_read_u16 v11, v13 offset:2176
	ds_read_u16 v0, v13 offset:2448
	;; [unrolled: 1-line block ×3, first 2 shown]
	ds_read_u16 v2, v13
	ds_read_u16 v20, v13 offset:272
	ds_read_u16 v19, v13 offset:544
	;; [unrolled: 1-line block ×7, first 2 shown]
	s_mov_b32 s6, 0x5040100
	s_waitcnt lgkmcnt(8)
	v_perm_b32 v0, v33, v0, s6
.LBB0_17:
	s_or_b64 exec, exec, s[4:5]
	v_mul_f16_sdwa v14, v14, v5 dst_sel:DWORD dst_unused:UNUSED_PAD src0_sel:DWORD src1_sel:WORD_1
	v_fma_f16 v5, v22, v5, -v14
	v_sub_f16_e32 v5, v21, v5
	v_fma_f16 v14, v21, 2.0, -v5
	v_fma_f16 v3, v3, 2.0, -v24
	v_sub_f16_e32 v22, v14, v3
	v_sub_f16_e32 v23, v5, v23
	v_fma_f16 v3, v14, 2.0, -v22
	v_fma_f16 v21, v5, 2.0, -v23
	;; [unrolled: 1-line block ×3, first 2 shown]
	v_sub_f16_e32 v14, v3, v5
	v_sub_f16_e32 v5, v21, v32
	;; [unrolled: 1-line block ×3, first 2 shown]
	v_fma_f16 v25, v21, 2.0, -v5
	v_sub_f16_e32 v21, v22, v27
	v_fma_f16 v24, v22, 2.0, -v21
	v_add_f16_e32 v22, v23, v29
	v_sub_f16_e32 v22, v22, v28
	v_fma_f16 v3, v3, 2.0, -v14
	v_fma_f16 v23, v23, 2.0, -v22
	s_waitcnt lgkmcnt(0)
	s_barrier
	ds_write_b16 v26, v3
	ds_write_b16 v26, v25 offset:34
	ds_write_b16 v26, v24 offset:68
	;; [unrolled: 1-line block ×7, first 2 shown]
	s_waitcnt lgkmcnt(0)
	s_barrier
	s_and_saveexec_b64 s[4:5], s[0:1]
	s_cbranch_execnz .LBB0_20
; %bb.18:
	s_or_b64 exec, exec, s[4:5]
	s_and_b64 s[0:1], vcc, s[0:1]
	s_and_saveexec_b64 s[4:5], s[0:1]
	s_cbranch_execnz .LBB0_21
.LBB0_19:
	s_endpgm
.LBB0_20:
	ds_read_u16 v12, v13 offset:2176
	ds_read_u16 v1, v13 offset:2448
	;; [unrolled: 1-line block ×3, first 2 shown]
	ds_read_u16 v3, v13
	ds_read_u16 v25, v13 offset:272
	ds_read_u16 v24, v13 offset:544
	;; [unrolled: 1-line block ×7, first 2 shown]
	s_mov_b32 s6, 0x5040100
	s_waitcnt lgkmcnt(8)
	v_perm_b32 v1, v26, v1, s6
	s_or_b64 exec, exec, s[4:5]
	s_and_b64 s[0:1], vcc, s[0:1]
	s_and_saveexec_b64 s[4:5], s[0:1]
	s_cbranch_execz .LBB0_19
.LBB0_21:
	v_mul_u32_u24_e32 v13, 10, v10
	v_lshlrev_b32_e32 v13, 2, v13
	global_load_dwordx4 v[26:29], v13, s[12:13] offset:476
	global_load_dwordx2 v[34:35], v13, s[12:13] offset:508
	global_load_dwordx4 v[30:33], v13, s[12:13] offset:492
	v_mul_lo_u32 v13, s3, v8
	v_mul_lo_u32 v36, s2, v9
	v_mad_u64_u32 v[8:9], s[0:1], s2, v8, 0
	v_lshrrev_b32_e32 v38, 16, v1
	v_lshrrev_b32_e32 v37, 16, v0
	v_add3_u32 v9, v9, v36, v13
	s_mov_b32 s1, 0xb08e
	s_mov_b32 s0, 0xbbad
	s_movk_i32 s2, 0x36a6
	s_movk_i32 s3, 0x3abb
	s_mov_b32 s4, 0xb93d
	s_movk_i32 s7, 0x3b47
	s_movk_i32 s14, 0x3a0c
	s_mov_b32 s12, 0xb482
	s_mov_b32 s5, 0xbbeb
	;; [unrolled: 1-line block ×3, first 2 shown]
	s_movk_i32 s13, 0x3853
	s_movk_i32 s9, 0x3beb
	;; [unrolled: 1-line block ×3, first 2 shown]
	s_waitcnt vmcnt(2) lgkmcnt(6)
	v_mul_f16_sdwa v13, v25, v26 dst_sel:DWORD dst_unused:UNUSED_PAD src0_sel:DWORD src1_sel:WORD_1
	s_waitcnt vmcnt(1)
	v_mul_f16_sdwa v36, v38, v35 dst_sel:DWORD dst_unused:UNUSED_PAD src0_sel:DWORD src1_sel:WORD_1
	v_mul_f16_sdwa v39, v37, v35 dst_sel:DWORD dst_unused:UNUSED_PAD src0_sel:DWORD src1_sel:WORD_1
	;; [unrolled: 1-line block ×3, first 2 shown]
	s_waitcnt lgkmcnt(5)
	v_mul_f16_sdwa v41, v24, v27 dst_sel:DWORD dst_unused:UNUSED_PAD src0_sel:DWORD src1_sel:WORD_1
	v_mul_f16_sdwa v42, v1, v34 dst_sel:DWORD dst_unused:UNUSED_PAD src0_sel:DWORD src1_sel:WORD_1
	v_fma_f16 v13, v20, v26, v13
	v_fma_f16 v20, v37, v35, v36
	v_mul_f16_sdwa v43, v0, v34 dst_sel:DWORD dst_unused:UNUSED_PAD src0_sel:DWORD src1_sel:WORD_1
	v_mul_f16_sdwa v44, v19, v27 dst_sel:DWORD dst_unused:UNUSED_PAD src0_sel:DWORD src1_sel:WORD_1
	s_waitcnt lgkmcnt(4)
	v_mul_f16_sdwa v45, v23, v28 dst_sel:DWORD dst_unused:UNUSED_PAD src0_sel:DWORD src1_sel:WORD_1
	s_waitcnt vmcnt(0)
	v_mul_f16_sdwa v46, v12, v33 dst_sel:DWORD dst_unused:UNUSED_PAD src0_sel:DWORD src1_sel:WORD_1
	v_mul_f16_sdwa v48, v18, v28 dst_sel:DWORD dst_unused:UNUSED_PAD src0_sel:DWORD src1_sel:WORD_1
	v_fma_f16 v35, v38, v35, -v39
	v_fma_f16 v25, v25, v26, -v40
	v_fma_f16 v19, v19, v27, v41
	v_fma_f16 v0, v0, v34, v42
	v_sub_f16_e32 v26, v13, v20
	v_mul_f16_sdwa v47, v11, v33 dst_sel:DWORD dst_unused:UNUSED_PAD src0_sel:DWORD src1_sel:WORD_1
	s_waitcnt lgkmcnt(3)
	v_mul_f16_sdwa v49, v14, v29 dst_sel:DWORD dst_unused:UNUSED_PAD src0_sel:DWORD src1_sel:WORD_1
	s_waitcnt lgkmcnt(0)
	v_mul_f16_sdwa v50, v22, v32 dst_sel:DWORD dst_unused:UNUSED_PAD src0_sel:DWORD src1_sel:WORD_1
	v_mul_f16_sdwa v52, v16, v29 dst_sel:DWORD dst_unused:UNUSED_PAD src0_sel:DWORD src1_sel:WORD_1
	;; [unrolled: 1-line block ×4, first 2 shown]
	v_fma_f16 v1, v1, v34, -v43
	v_fma_f16 v24, v24, v27, -v44
	v_fma_f16 v18, v18, v28, v45
	v_fma_f16 v11, v11, v33, v46
	v_fma_f16 v23, v23, v28, -v48
	v_add_f16_e32 v27, v25, v35
	v_sub_f16_e32 v28, v19, v0
	v_mul_f16_e32 v41, 0xbbeb, v26
	v_mul_f16_sdwa v51, v17, v32 dst_sel:DWORD dst_unused:UNUSED_PAD src0_sel:DWORD src1_sel:WORD_1
	v_mul_f16_sdwa v54, v21, v31 dst_sel:DWORD dst_unused:UNUSED_PAD src0_sel:DWORD src1_sel:WORD_1
	;; [unrolled: 1-line block ×3, first 2 shown]
	v_fma_f16 v12, v12, v33, -v47
	v_fma_f16 v16, v16, v29, v49
	v_fma_f16 v17, v17, v32, v50
	v_fma_f16 v14, v14, v29, -v52
	v_fma_f16 v15, v15, v30, v53
	v_fma_f16 v5, v5, v30, -v56
	v_add_f16_e32 v29, v24, v1
	v_sub_f16_e32 v30, v18, v11
	v_mul_f16_e32 v42, 0x3482, v28
	v_fma_f16 v48, v27, s1, v41
	v_fma_f16 v22, v22, v32, -v51
	v_fma_f16 v4, v4, v31, v54
	v_fma_f16 v21, v21, v31, -v55
	v_add_f16_e32 v31, v23, v12
	v_sub_f16_e32 v32, v16, v17
	v_mul_f16_e32 v43, 0x3b47, v30
	v_fma_f16 v49, v29, s0, v42
	v_add_f16_e32 v48, v3, v48
	v_add_f16_e32 v33, v14, v22
	v_sub_f16_e32 v34, v15, v4
	v_sub_f16_e32 v38, v25, v35
	v_mul_f16_e32 v44, 0xb853, v32
	v_fma_f16 v50, v31, s2, v43
	v_add_f16_e32 v48, v48, v49
	v_add_f16_e32 v36, v5, v21
	;; [unrolled: 1-line block ×3, first 2 shown]
	v_sub_f16_e32 v40, v24, v1
	v_mul_f16_e32 v45, 0xba0c, v34
	v_mul_f16_e32 v46, 0xbbeb, v38
	v_fma_f16 v51, v33, s3, v44
	v_add_f16_e32 v48, v48, v50
	v_add_f16_e32 v39, v19, v0
	v_mul_f16_e32 v47, 0x3482, v40
	v_fma_f16 v52, v36, s4, v45
	v_fma_f16 v53, v37, s1, -v46
	v_add_f16_e32 v48, v48, v51
	v_sub_f16_e32 v51, v23, v12
	v_fma_f16 v54, v39, s0, -v47
	v_add_f16_e32 v53, v2, v53
	v_add_f16_e32 v48, v48, v52
	;; [unrolled: 1-line block ×3, first 2 shown]
	v_mul_f16_e32 v52, 0x3b47, v51
	v_add_f16_e32 v49, v53, v54
	v_fma_f16 v53, v50, s2, -v52
	v_sub_f16_e32 v54, v14, v22
	v_add_f16_e32 v49, v49, v53
	v_add_f16_e32 v53, v16, v17
	v_mul_f16_e32 v55, 0xb853, v54
	v_fma_f16 v56, v53, s3, -v55
	v_sub_f16_e32 v57, v5, v21
	v_add_f16_e32 v49, v49, v56
	v_add_f16_e32 v56, v15, v4
	v_mul_f16_e32 v58, 0xba0c, v57
	v_fma_f16 v41, v27, s1, -v41
	v_fma_f16 v59, v56, s4, -v58
	v_add_f16_e32 v41, v3, v41
	v_fma_f16 v42, v29, s0, -v42
	v_add_f16_e32 v49, v49, v59
	v_mul_f16_e32 v59, 0xba0c, v26
	v_add_f16_e32 v41, v41, v42
	v_fma_f16 v42, v31, s2, -v43
	v_fma_f16 v60, v27, s4, v59
	v_mul_f16_e32 v61, 0x3beb, v28
	v_add_f16_e32 v41, v41, v42
	v_fma_f16 v42, v33, s3, -v44
	v_add_f16_e32 v60, v3, v60
	v_fma_f16 v62, v29, s1, v61
	v_add_f16_e32 v41, v41, v42
	v_fma_f16 v42, v36, s4, -v45
	v_add_f16_e32 v60, v60, v62
	v_mul_f16_e32 v62, 0xb853, v30
	v_add_f16_e32 v41, v41, v42
	v_fma_f16 v42, v37, s1, v46
	v_fma_f16 v63, v31, s3, v62
	v_add_f16_e32 v42, v2, v42
	v_fma_f16 v43, v39, s0, v47
	v_add_f16_e32 v60, v60, v63
	v_mul_f16_e32 v63, 0xb482, v32
	v_add_f16_e32 v42, v42, v43
	v_fma_f16 v43, v50, s2, v52
	v_fma_f16 v64, v33, s0, v63
	v_add_f16_e32 v42, v42, v43
	v_fma_f16 v43, v53, s3, v55
	v_add_f16_e32 v60, v60, v64
	v_mul_f16_e32 v64, 0x3b47, v34
	v_add_f16_e32 v42, v42, v43
	v_fma_f16 v43, v56, s4, v58
	v_fma_f16 v65, v36, s2, v64
	v_fma_f16 v59, v27, s4, -v59
	v_add_f16_e32 v42, v42, v43
	v_mul_f16_e32 v43, 0x36a6, v27
	v_add_f16_e32 v60, v60, v65
	v_mul_f16_e32 v65, 0xba0c, v38
	v_add_f16_e32 v59, v3, v59
	v_fma_f16 v61, v29, s1, -v61
	v_fma_f16 v44, v26, s7, v43
	v_mul_f16_e32 v45, 0xb93d, v29
	v_fma_f16 v66, v37, s4, -v65
	v_mul_f16_e32 v67, 0x3beb, v40
	v_add_f16_e32 v59, v59, v61
	v_fma_f16 v61, v31, s3, -v62
	v_add_f16_e32 v44, v3, v44
	v_fma_f16 v46, v28, s14, v45
	v_add_f16_e32 v66, v2, v66
	v_fma_f16 v68, v39, s1, -v67
	v_add_f16_e32 v59, v59, v61
	v_fma_f16 v61, v33, s0, -v63
	v_add_f16_e32 v44, v44, v46
	v_mul_f16_e32 v46, 0xbbad, v31
	v_add_f16_e32 v66, v66, v68
	v_mul_f16_e32 v68, 0xb853, v51
	v_add_f16_e32 v59, v59, v61
	v_fma_f16 v61, v36, s2, -v64
	v_fma_f16 v47, v30, s12, v46
	v_add_f16_e32 v13, v2, v13
	v_fma_f16 v69, v50, s3, -v68
	v_add_f16_e32 v59, v59, v61
	v_fma_f16 v61, v37, s4, v65
	v_add_f16_e32 v44, v44, v47
	v_mul_f16_e32 v47, 0xb08e, v33
	v_add_f16_e32 v13, v13, v19
	v_add_f16_e32 v66, v66, v69
	v_mul_f16_e32 v69, 0xb482, v54
	v_add_f16_e32 v61, v2, v61
	v_fma_f16 v62, v39, s1, v67
	v_fma_f16 v52, v32, s5, v47
	v_add_f16_e32 v13, v13, v18
	v_fma_f16 v70, v53, s0, -v69
	v_add_f16_e32 v61, v61, v62
	v_fma_f16 v62, v50, s3, v68
	v_add_f16_e32 v44, v44, v52
	v_mul_f16_e32 v52, 0x3abb, v36
	v_add_f16_e32 v13, v13, v16
	v_add_f16_e32 v66, v66, v70
	v_mul_f16_e32 v70, 0x3b47, v57
	v_add_f16_e32 v61, v61, v62
	v_fma_f16 v62, v53, s0, v69
	v_fma_f16 v55, v34, s8, v52
	v_add_f16_e32 v13, v13, v15
	v_add_f16_e32 v61, v61, v62
	v_fma_f16 v62, v56, s2, v70
	v_add_f16_e32 v44, v44, v55
	v_mul_f16_e32 v55, 0xbb47, v38
	v_add_f16_e32 v4, v13, v4
	v_add_f16_e32 v61, v61, v62
	v_fma_f16 v58, v37, s2, v55
	v_mul_f16_e32 v62, 0xba0c, v40
	v_add_f16_e32 v4, v17, v4
	v_add_f16_e32 v58, v2, v58
	v_fma_f16 v63, v39, s4, v62
	v_add_f16_e32 v4, v11, v4
	v_add_f16_e32 v58, v58, v63
	v_mul_f16_e32 v63, 0x3482, v51
	v_add_f16_e32 v0, v0, v4
	v_fma_f16 v71, v56, s2, -v70
	v_fma_f16 v64, v50, s0, v63
	v_add_f16_e32 v4, v20, v0
	v_add_f16_e32 v0, v3, v25
	;; [unrolled: 1-line block ×3, first 2 shown]
	v_mul_f16_e32 v71, 0xb482, v26
	v_add_f16_e32 v58, v58, v64
	v_mul_f16_e32 v64, 0x3beb, v54
	v_add_f16_e32 v0, v0, v24
	v_fma_f16 v72, v27, s0, v71
	v_mul_f16_e32 v73, 0x3853, v28
	v_fma_f16 v65, v53, s1, v64
	v_add_f16_e32 v0, v0, v23
	v_add_f16_e32 v72, v3, v72
	v_fma_f16 v74, v29, s3, v73
	v_add_f16_e32 v58, v58, v65
	v_mul_f16_e32 v65, 0x3853, v57
	v_add_f16_e32 v0, v0, v14
	v_add_f16_e32 v72, v72, v74
	v_mul_f16_e32 v74, 0xba0c, v30
	v_fma_f16 v71, v27, s0, -v71
	v_fma_f16 v67, v56, s3, v65
	v_mul_f16_e32 v27, 0x3abb, v27
	v_add_f16_e32 v0, v0, v5
	v_fma_f16 v75, v31, s4, v74
	v_add_f16_e32 v71, v3, v71
	v_fma_f16 v73, v29, s3, -v73
	v_add_f16_e32 v58, v58, v67
	v_fma_f16 v67, v26, s13, v27
	v_mul_f16_e32 v29, 0x36a6, v29
	v_add_f16_e32 v0, v0, v21
	v_add_f16_e32 v72, v72, v75
	v_mul_f16_e32 v75, 0x3b47, v32
	v_add_f16_e32 v71, v71, v73
	v_fma_f16 v73, v31, s4, -v74
	v_add_f16_e32 v67, v3, v67
	v_fma_f16 v68, v28, s7, v29
	v_mul_f16_e32 v31, 0xb08e, v31
	v_add_f16_e32 v0, v22, v0
	v_fma_f16 v76, v33, s2, v75
	v_add_f16_e32 v71, v71, v73
	v_fma_f16 v73, v33, s2, -v75
	v_add_f16_e32 v67, v67, v68
	v_fma_f16 v68, v30, s9, v31
	v_mul_f16_e32 v33, 0xb93d, v33
	v_add_f16_e32 v0, v12, v0
	v_add_f16_e32 v67, v67, v68
	v_fma_f16 v68, v32, s14, v33
	s_mov_b32 s14, 0xbb47
	v_add_f16_e32 v0, v1, v0
	s_mov_b32 s7, 0xba0c
	v_add_f16_e32 v5, v35, v0
	v_fma_f16 v0, v26, s14, v43
	v_add_f16_e32 v0, v3, v0
	v_fma_f16 v1, v28, s7, v45
	;; [unrolled: 2-line block ×5, first 2 shown]
	v_add_f16_e32 v11, v0, v1
	v_fma_f16 v0, v37, s2, -v55
	v_add_f16_e32 v0, v2, v0
	v_fma_f16 v1, v39, s4, -v62
	;; [unrolled: 2-line block ×4, first 2 shown]
	v_add_f16_e32 v72, v72, v76
	v_mul_f16_e32 v76, 0xbbeb, v34
	v_add_f16_e32 v0, v0, v1
	v_fma_f16 v1, v56, s3, -v65
	v_fma_f16 v77, v36, s1, v76
	v_add_f16_e32 v12, v0, v1
	v_fma_f16 v0, v26, s8, v27
	v_add_f16_e32 v72, v72, v77
	v_mul_f16_e32 v77, 0xb482, v38
	v_add_f16_e32 v0, v3, v0
	v_fma_f16 v1, v28, s14, v29
	v_fma_f16 v78, v37, s0, -v77
	v_mul_f16_e32 v79, 0x3853, v40
	v_add_f16_e32 v0, v0, v1
	v_fma_f16 v1, v30, s5, v31
	v_add_f16_e32 v78, v2, v78
	v_fma_f16 v80, v39, s3, -v79
	v_add_f16_e32 v71, v71, v73
	v_fma_f16 v73, v36, s1, -v76
	v_mul_f16_e32 v36, 0xbbad, v36
	v_add_f16_e32 v0, v0, v1
	v_fma_f16 v1, v32, s7, v33
	v_add_f16_e32 v78, v78, v80
	v_mul_f16_e32 v80, 0xba0c, v51
	v_add_f16_e32 v71, v71, v73
	v_fma_f16 v73, v37, s0, v77
	v_mul_f16_e32 v38, 0xb853, v38
	v_add_f16_e32 v0, v0, v1
	v_fma_f16 v1, v34, s12, v36
	v_fma_f16 v81, v50, s4, -v80
	v_add_f16_e32 v73, v2, v73
	v_fma_f16 v74, v39, s3, v79
	v_add_f16_e32 v67, v67, v68
	v_fma_f16 v68, v34, s6, v36
	v_mul_f16_e32 v40, 0xbb47, v40
	v_add_f16_e32 v13, v0, v1
	v_fma_f16 v0, v37, s3, -v38
	v_add_f16_e32 v78, v78, v81
	v_mul_f16_e32 v81, 0x3b47, v54
	v_add_f16_e32 v73, v73, v74
	v_fma_f16 v74, v50, s4, v80
	v_add_f16_e32 v67, v67, v68
	v_fma_f16 v68, v37, s3, v38
	v_add_f16_e32 v0, v2, v0
	v_fma_f16 v1, v39, s2, -v40
	v_fma_f16 v82, v53, s2, -v81
	v_add_f16_e32 v73, v73, v74
	v_fma_f16 v74, v53, s2, v81
	v_add_f16_e32 v68, v2, v68
	v_fma_f16 v69, v39, s2, v40
	v_add_f16_e32 v2, v0, v1
	v_mad_u64_u32 v[0:1], s[2:3], s20, v10, 0
	v_mul_f16_e32 v51, 0xbbeb, v51
	v_mul_f16_e32 v54, 0xba0c, v54
	v_fma_f16 v3, v50, s1, -v51
	v_add_f16_e32 v78, v78, v82
	v_mul_f16_e32 v82, 0xbbeb, v57
	v_mul_f16_e32 v57, 0xb482, v57
	v_add_f16_e32 v3, v2, v3
	v_fma_f16 v14, v53, s4, -v54
	v_mad_u64_u32 v[1:2], s[2:3], s21, v10, v[1:2]
	v_add_f16_e32 v2, v3, v14
	v_fma_f16 v3, v56, s0, -v57
	v_add_f16_e32 v14, v2, v3
	v_lshlrev_b64 v[2:3], 2, v[8:9]
	v_mov_b32_e32 v8, s11
	v_add_co_u32_e32 v9, vcc, s10, v2
	v_addc_co_u32_e32 v8, vcc, v8, v3, vcc
	v_lshlrev_b64 v[2:3], 2, v[6:7]
	v_add_f16_e32 v68, v68, v69
	v_fma_f16 v69, v50, s1, v51
	v_add_co_u32_e32 v6, vcc, v9, v2
	v_add_f16_e32 v68, v68, v69
	v_fma_f16 v69, v53, s4, v54
	v_addc_co_u32_e32 v7, vcc, v8, v3, vcc
	v_add_u32_e32 v8, 0x88, v10
	v_fma_f16 v83, v56, s1, -v82
	v_add_f16_e32 v73, v73, v74
	v_fma_f16 v74, v56, s1, v82
	v_add_f16_e32 v68, v68, v69
	v_fma_f16 v69, v56, s0, v57
	v_mad_u64_u32 v[2:3], s[0:1], s20, v8, 0
	v_pack_b32_f16 v9, v4, v5
	v_lshlrev_b64 v[0:1], 2, v[0:1]
	v_mad_u64_u32 v[3:4], s[0:1], s21, v8, v[3:4]
	v_add_u32_e32 v8, 0x110, v10
	v_mad_u64_u32 v[4:5], s[0:1], s20, v8, 0
	v_add_co_u32_e32 v0, vcc, v6, v0
	v_addc_co_u32_e32 v1, vcc, v7, v1, vcc
	global_store_dword v[0:1], v9, off
	v_lshlrev_b64 v[0:1], 2, v[2:3]
	v_mov_b32_e32 v2, v5
	v_mad_u64_u32 v[2:3], s[0:1], s21, v8, v[2:3]
	v_add_f16_e32 v68, v68, v69
	v_add_co_u32_e32 v0, vcc, v6, v0
	v_addc_co_u32_e32 v1, vcc, v7, v1, vcc
	v_pack_b32_f16 v3, v68, v67
	v_mov_b32_e32 v5, v2
	global_store_dword v[0:1], v3, off
	v_lshlrev_b64 v[0:1], 2, v[4:5]
	v_add_u32_e32 v4, 0x198, v10
	v_mad_u64_u32 v[2:3], s[0:1], s20, v4, 0
	v_add_u32_e32 v9, 0x220, v10
	v_add_co_u32_e32 v0, vcc, v6, v0
	v_mad_u64_u32 v[3:4], s[0:1], s21, v4, v[3:4]
	v_mad_u64_u32 v[4:5], s[0:1], s20, v9, 0
	v_addc_co_u32_e32 v1, vcc, v7, v1, vcc
	v_pack_b32_f16 v8, v58, v44
	global_store_dword v[0:1], v8, off
	v_lshlrev_b64 v[0:1], 2, v[2:3]
	v_mov_b32_e32 v2, v5
	v_mad_u64_u32 v[2:3], s[0:1], s21, v9, v[2:3]
	v_add_co_u32_e32 v0, vcc, v6, v0
	v_addc_co_u32_e32 v1, vcc, v7, v1, vcc
	v_pack_b32_f16 v3, v42, v41
	v_mov_b32_e32 v5, v2
	global_store_dword v[0:1], v3, off
	v_lshlrev_b64 v[0:1], 2, v[4:5]
	v_add_u32_e32 v4, 0x2a8, v10
	v_mad_u64_u32 v[2:3], s[0:1], s20, v4, 0
	v_add_u32_e32 v9, 0x330, v10
	v_add_co_u32_e32 v0, vcc, v6, v0
	v_mad_u64_u32 v[3:4], s[0:1], s21, v4, v[3:4]
	v_mad_u64_u32 v[4:5], s[0:1], s20, v9, 0
	v_addc_co_u32_e32 v1, vcc, v7, v1, vcc
	v_pack_b32_f16 v8, v61, v59
	global_store_dword v[0:1], v8, off
	v_lshlrev_b64 v[0:1], 2, v[2:3]
	v_mov_b32_e32 v2, v5
	v_mad_u64_u32 v[2:3], s[0:1], s21, v9, v[2:3]
	v_add_f16_e32 v73, v73, v74
	v_add_co_u32_e32 v0, vcc, v6, v0
	v_addc_co_u32_e32 v1, vcc, v7, v1, vcc
	v_pack_b32_f16 v3, v73, v71
	v_mov_b32_e32 v5, v2
	global_store_dword v[0:1], v3, off
	v_lshlrev_b64 v[0:1], 2, v[4:5]
	v_add_u32_e32 v4, 0x3b8, v10
	v_mad_u64_u32 v[2:3], s[0:1], s20, v4, 0
	v_add_u32_e32 v9, 0x440, v10
	v_add_f16_e32 v78, v78, v83
	v_mad_u64_u32 v[3:4], s[0:1], s21, v4, v[3:4]
	v_mad_u64_u32 v[4:5], s[0:1], s20, v9, 0
	v_add_co_u32_e32 v0, vcc, v6, v0
	v_addc_co_u32_e32 v1, vcc, v7, v1, vcc
	v_pack_b32_f16 v8, v78, v72
	global_store_dword v[0:1], v8, off
	v_lshlrev_b64 v[0:1], 2, v[2:3]
	v_mov_b32_e32 v2, v5
	v_mad_u64_u32 v[2:3], s[0:1], s21, v9, v[2:3]
	v_add_co_u32_e32 v0, vcc, v6, v0
	v_addc_co_u32_e32 v1, vcc, v7, v1, vcc
	v_pack_b32_f16 v3, v66, v60
	v_mov_b32_e32 v5, v2
	global_store_dword v[0:1], v3, off
	v_lshlrev_b64 v[0:1], 2, v[4:5]
	v_add_u32_e32 v4, 0x4c8, v10
	v_mad_u64_u32 v[2:3], s[0:1], s20, v4, 0
	v_add_u32_e32 v9, 0x550, v10
	v_add_co_u32_e32 v0, vcc, v6, v0
	v_mad_u64_u32 v[3:4], s[0:1], s21, v4, v[3:4]
	v_mad_u64_u32 v[4:5], s[0:1], s20, v9, 0
	v_addc_co_u32_e32 v1, vcc, v7, v1, vcc
	v_pack_b32_f16 v8, v49, v48
	global_store_dword v[0:1], v8, off
	v_lshlrev_b64 v[0:1], 2, v[2:3]
	v_mov_b32_e32 v2, v5
	v_mad_u64_u32 v[2:3], s[0:1], s21, v9, v[2:3]
	v_add_co_u32_e32 v0, vcc, v6, v0
	v_addc_co_u32_e32 v1, vcc, v7, v1, vcc
	v_pack_b32_f16 v3, v12, v11
	v_mov_b32_e32 v5, v2
	global_store_dword v[0:1], v3, off
	v_lshlrev_b64 v[0:1], 2, v[4:5]
	v_pack_b32_f16 v2, v14, v13
	v_add_co_u32_e32 v0, vcc, v6, v0
	v_addc_co_u32_e32 v1, vcc, v7, v1, vcc
	global_store_dword v[0:1], v2, off
	s_endpgm
	.section	.rodata,"a",@progbits
	.p2align	6, 0x0
	.amdhsa_kernel fft_rtc_back_len1496_factors_17_8_11_wgs_187_tpt_187_halfLds_half_op_CI_CI_sbrr_dirReg
		.amdhsa_group_segment_fixed_size 0
		.amdhsa_private_segment_fixed_size 0
		.amdhsa_kernarg_size 104
		.amdhsa_user_sgpr_count 6
		.amdhsa_user_sgpr_private_segment_buffer 1
		.amdhsa_user_sgpr_dispatch_ptr 0
		.amdhsa_user_sgpr_queue_ptr 0
		.amdhsa_user_sgpr_kernarg_segment_ptr 1
		.amdhsa_user_sgpr_dispatch_id 0
		.amdhsa_user_sgpr_flat_scratch_init 0
		.amdhsa_user_sgpr_private_segment_size 0
		.amdhsa_uses_dynamic_stack 0
		.amdhsa_system_sgpr_private_segment_wavefront_offset 0
		.amdhsa_system_sgpr_workgroup_id_x 1
		.amdhsa_system_sgpr_workgroup_id_y 0
		.amdhsa_system_sgpr_workgroup_id_z 0
		.amdhsa_system_sgpr_workgroup_info 0
		.amdhsa_system_vgpr_workitem_id 0
		.amdhsa_next_free_vgpr 84
		.amdhsa_next_free_sgpr 55
		.amdhsa_reserve_vcc 1
		.amdhsa_reserve_flat_scratch 0
		.amdhsa_float_round_mode_32 0
		.amdhsa_float_round_mode_16_64 0
		.amdhsa_float_denorm_mode_32 3
		.amdhsa_float_denorm_mode_16_64 3
		.amdhsa_dx10_clamp 1
		.amdhsa_ieee_mode 1
		.amdhsa_fp16_overflow 0
		.amdhsa_exception_fp_ieee_invalid_op 0
		.amdhsa_exception_fp_denorm_src 0
		.amdhsa_exception_fp_ieee_div_zero 0
		.amdhsa_exception_fp_ieee_overflow 0
		.amdhsa_exception_fp_ieee_underflow 0
		.amdhsa_exception_fp_ieee_inexact 0
		.amdhsa_exception_int_div_zero 0
	.end_amdhsa_kernel
	.text
.Lfunc_end0:
	.size	fft_rtc_back_len1496_factors_17_8_11_wgs_187_tpt_187_halfLds_half_op_CI_CI_sbrr_dirReg, .Lfunc_end0-fft_rtc_back_len1496_factors_17_8_11_wgs_187_tpt_187_halfLds_half_op_CI_CI_sbrr_dirReg
                                        ; -- End function
	.section	.AMDGPU.csdata,"",@progbits
; Kernel info:
; codeLenInByte = 10924
; NumSgprs: 59
; NumVgprs: 84
; ScratchSize: 0
; MemoryBound: 0
; FloatMode: 240
; IeeeMode: 1
; LDSByteSize: 0 bytes/workgroup (compile time only)
; SGPRBlocks: 7
; VGPRBlocks: 20
; NumSGPRsForWavesPerEU: 59
; NumVGPRsForWavesPerEU: 84
; Occupancy: 3
; WaveLimiterHint : 1
; COMPUTE_PGM_RSRC2:SCRATCH_EN: 0
; COMPUTE_PGM_RSRC2:USER_SGPR: 6
; COMPUTE_PGM_RSRC2:TRAP_HANDLER: 0
; COMPUTE_PGM_RSRC2:TGID_X_EN: 1
; COMPUTE_PGM_RSRC2:TGID_Y_EN: 0
; COMPUTE_PGM_RSRC2:TGID_Z_EN: 0
; COMPUTE_PGM_RSRC2:TIDIG_COMP_CNT: 0
	.type	__hip_cuid_d44dfa9bf504f921,@object ; @__hip_cuid_d44dfa9bf504f921
	.section	.bss,"aw",@nobits
	.globl	__hip_cuid_d44dfa9bf504f921
__hip_cuid_d44dfa9bf504f921:
	.byte	0                               ; 0x0
	.size	__hip_cuid_d44dfa9bf504f921, 1

	.ident	"AMD clang version 19.0.0git (https://github.com/RadeonOpenCompute/llvm-project roc-6.4.0 25133 c7fe45cf4b819c5991fe208aaa96edf142730f1d)"
	.section	".note.GNU-stack","",@progbits
	.addrsig
	.addrsig_sym __hip_cuid_d44dfa9bf504f921
	.amdgpu_metadata
---
amdhsa.kernels:
  - .args:
      - .actual_access:  read_only
        .address_space:  global
        .offset:         0
        .size:           8
        .value_kind:     global_buffer
      - .offset:         8
        .size:           8
        .value_kind:     by_value
      - .actual_access:  read_only
        .address_space:  global
        .offset:         16
        .size:           8
        .value_kind:     global_buffer
      - .actual_access:  read_only
        .address_space:  global
        .offset:         24
        .size:           8
        .value_kind:     global_buffer
      - .actual_access:  read_only
        .address_space:  global
        .offset:         32
        .size:           8
        .value_kind:     global_buffer
      - .offset:         40
        .size:           8
        .value_kind:     by_value
      - .actual_access:  read_only
        .address_space:  global
        .offset:         48
        .size:           8
        .value_kind:     global_buffer
      - .actual_access:  read_only
        .address_space:  global
        .offset:         56
        .size:           8
        .value_kind:     global_buffer
      - .offset:         64
        .size:           4
        .value_kind:     by_value
      - .actual_access:  read_only
        .address_space:  global
        .offset:         72
        .size:           8
        .value_kind:     global_buffer
      - .actual_access:  read_only
        .address_space:  global
        .offset:         80
        .size:           8
        .value_kind:     global_buffer
      - .actual_access:  read_only
        .address_space:  global
        .offset:         88
        .size:           8
        .value_kind:     global_buffer
      - .actual_access:  write_only
        .address_space:  global
        .offset:         96
        .size:           8
        .value_kind:     global_buffer
    .group_segment_fixed_size: 0
    .kernarg_segment_align: 8
    .kernarg_segment_size: 104
    .language:       OpenCL C
    .language_version:
      - 2
      - 0
    .max_flat_workgroup_size: 187
    .name:           fft_rtc_back_len1496_factors_17_8_11_wgs_187_tpt_187_halfLds_half_op_CI_CI_sbrr_dirReg
    .private_segment_fixed_size: 0
    .sgpr_count:     59
    .sgpr_spill_count: 0
    .symbol:         fft_rtc_back_len1496_factors_17_8_11_wgs_187_tpt_187_halfLds_half_op_CI_CI_sbrr_dirReg.kd
    .uniform_work_group_size: 1
    .uses_dynamic_stack: false
    .vgpr_count:     84
    .vgpr_spill_count: 0
    .wavefront_size: 64
amdhsa.target:   amdgcn-amd-amdhsa--gfx906
amdhsa.version:
  - 1
  - 2
...

	.end_amdgpu_metadata
